;; amdgpu-corpus repo=zjin-lcf/HeCBench kind=compiled arch=gfx1030 opt=O3
	.amdgcn_target "amdgcn-amd-amdhsa--gfx1030"
	.amdhsa_code_object_version 6
	.text
	.protected	_Z17scatterAdd_kernelPKiPKfPfiii ; -- Begin function _Z17scatterAdd_kernelPKiPKfPfiii
	.globl	_Z17scatterAdd_kernelPKiPKfPfiii
	.p2align	8
	.type	_Z17scatterAdd_kernelPKiPKfPfiii,@function
_Z17scatterAdd_kernelPKiPKfPfiii:       ; @_Z17scatterAdd_kernelPKiPKfPfiii
; %bb.0:
	s_load_dwordx4 s[0:3], s[4:5], 0x18
	v_lshlrev_b32_e32 v2, 5, v1
	s_mov_b32 s7, 0
	v_add_nc_u32_e32 v6, v2, v0
	s_waitcnt lgkmcnt(0)
	s_mul_i32 s1, s2, s1
	s_cmp_gt_i32 s1, 0
	s_cselect_b32 s3, -1, 0
	s_cmp_lt_i32 s1, 1
	s_cbranch_scc1 .LBB0_25
; %bb.1:
	s_add_i32 s9, s1, -1
	s_lshr_b32 s8, s9, 9
	s_add_i32 s8, s8, 1
	s_cmpk_lt_u32 s9, 0xe00
	s_mov_b32 s9, 0
	s_cbranch_scc1 .LBB0_20
; %bb.2:
	v_lshlrev_b32_e32 v3, 7, v1
	v_lshlrev_b32_e32 v4, 2, v0
	s_and_b32 s10, s8, 0xfffff8
	v_add3_u32 v3, v3, v4, 0
	v_mov_b32_e32 v4, 0
	s_branch .LBB0_4
.LBB0_3:                                ;   in Loop: Header=BB0_4 Depth=1
	s_or_b32 exec_lo, exec_lo, s11
	v_add_nc_u32_e32 v3, 0x4000, v3
	s_add_i32 s10, s10, -8
	s_addk_i32 s9, 0x1000
	s_cmp_eq_u32 s10, 0
	s_cbranch_scc1 .LBB0_20
.LBB0_4:                                ; =>This Inner Loop Header: Depth=1
	v_add_nc_u32_e32 v5, s9, v6
	s_mov_b32 s11, exec_lo
	v_cmpx_gt_i32_e64 s1, v5
; %bb.5:                                ;   in Loop: Header=BB0_4 Depth=1
	ds_write_b32 v3, v4
; %bb.6:                                ;   in Loop: Header=BB0_4 Depth=1
	s_or_b32 exec_lo, exec_lo, s11
	v_add_nc_u32_e32 v7, 0x200, v5
	s_mov_b32 s11, exec_lo
	v_cmpx_gt_i32_e64 s1, v7
; %bb.7:                                ;   in Loop: Header=BB0_4 Depth=1
	ds_write_b32 v3, v4 offset:2048
; %bb.8:                                ;   in Loop: Header=BB0_4 Depth=1
	s_or_b32 exec_lo, exec_lo, s11
	v_add_nc_u32_e32 v7, 0x400, v5
	s_mov_b32 s11, exec_lo
	v_cmpx_gt_i32_e64 s1, v7
; %bb.9:                                ;   in Loop: Header=BB0_4 Depth=1
	ds_write_b32 v3, v4 offset:4096
; %bb.10:                               ;   in Loop: Header=BB0_4 Depth=1
	s_or_b32 exec_lo, exec_lo, s11
	v_add_nc_u32_e32 v7, 0x600, v5
	s_mov_b32 s11, exec_lo
	v_cmpx_gt_i32_e64 s1, v7
; %bb.11:                               ;   in Loop: Header=BB0_4 Depth=1
	ds_write_b32 v3, v4 offset:6144
; %bb.12:                               ;   in Loop: Header=BB0_4 Depth=1
	s_or_b32 exec_lo, exec_lo, s11
	v_add_nc_u32_e32 v7, 0x800, v5
	s_mov_b32 s11, exec_lo
	v_cmpx_gt_i32_e64 s1, v7
; %bb.13:                               ;   in Loop: Header=BB0_4 Depth=1
	;; [unrolled: 7-line block ×4, first 2 shown]
	ds_write_b32 v3, v4 offset:12288
; %bb.18:                               ;   in Loop: Header=BB0_4 Depth=1
	s_or_b32 exec_lo, exec_lo, s11
	v_add_nc_u32_e32 v5, 0xe00, v5
	s_mov_b32 s11, exec_lo
	v_cmpx_gt_i32_e64 s1, v5
	s_cbranch_execz .LBB0_3
; %bb.19:                               ;   in Loop: Header=BB0_4 Depth=1
	ds_write_b32 v3, v4 offset:14336
	s_branch .LBB0_3
.LBB0_20:
	s_and_b32 s8, s8, 7
	s_cmp_eq_u32 s8, 0
	s_cbranch_scc1 .LBB0_25
; %bb.21:
	v_add3_u32 v2, v0, s9, v2
	v_mov_b32_e32 v4, 0
	s_lshl_b32 s8, s8, 2
	v_lshl_add_u32 v3, v2, 2, 0
	s_branch .LBB0_23
.LBB0_22:                               ;   in Loop: Header=BB0_23 Depth=1
	s_or_b32 exec_lo, exec_lo, s9
	v_add_nc_u32_e32 v3, 0x800, v3
	v_add_nc_u32_e32 v2, 0x200, v2
	s_add_i32 s8, s8, -4
	s_cmp_lg_u32 s8, 0
	s_cbranch_scc0 .LBB0_25
.LBB0_23:                               ; =>This Inner Loop Header: Depth=1
	s_mov_b32 s9, exec_lo
	v_cmpx_gt_i32_e64 s1, v2
	s_cbranch_execz .LBB0_22
; %bb.24:                               ;   in Loop: Header=BB0_23 Depth=1
	ds_write_b32 v3, v4
	s_branch .LBB0_22
.LBB0_25:
	s_clause 0x1
	s_load_dwordx4 s[8:11], s[4:5], 0x0
	s_load_dwordx2 s[4:5], s[4:5], 0x10
	s_lshl_b32 s12, s1, 2
	s_lshl_b32 s6, s6, 13
	s_add_i32 s12, s12, 0
	s_cmp_lt_i32 s2, 1
	v_lshl_add_u32 v7, v6, 2, s12
	v_lshl_add_u32 v2, v0, 2, 0
	s_cselect_b32 s14, -1, 0
	s_lshl_b32 s13, s2, 2
	s_xor_b32 s14, s14, -1
	s_waitcnt lgkmcnt(0)
	s_barrier
	buffer_gl0_inv
	s_branch .LBB0_27
.LBB0_26:                               ;   in Loop: Header=BB0_27 Depth=1
	s_add_i32 s15, s7, 0x200
	s_cmpk_gt_u32 s7, 0x1dff
	s_mov_b32 s7, s15
	s_waitcnt lgkmcnt(0)
	s_barrier
	buffer_gl0_inv
	s_cbranch_scc1 .LBB0_41
.LBB0_27:                               ; =>This Loop Header: Depth=1
                                        ;     Child Loop BB0_31 Depth 2
                                        ;       Child Loop BB0_34 Depth 3
                                        ;       Child Loop BB0_39 Depth 3
	s_add_i32 s15, s7, s6
	s_mov_b32 s16, exec_lo
	v_add_nc_u32_e32 v3, s15, v6
	v_cmpx_gt_i32_e64 s0, v3
	s_cbranch_execz .LBB0_29
; %bb.28:                               ;   in Loop: Header=BB0_27 Depth=1
	v_ashrrev_i32_e32 v4, 31, v3
	v_lshlrev_b64 v[3:4], 2, v[3:4]
	v_add_co_u32 v3, vcc_lo, s8, v3
	v_add_co_ci_u32_e64 v4, null, s9, v4, vcc_lo
	global_load_dword v3, v[3:4], off
	s_waitcnt vmcnt(0)
	ds_write_b32 v7, v3
.LBB0_29:                               ;   in Loop: Header=BB0_27 Depth=1
	s_or_b32 exec_lo, exec_lo, s16
	v_add_nc_u32_e32 v8, s15, v1
	s_mov_b32 s16, 0
	s_waitcnt lgkmcnt(0)
	s_barrier
	buffer_gl0_inv
	s_branch .LBB0_31
.LBB0_30:                               ;   in Loop: Header=BB0_31 Depth=2
	s_or_b32 exec_lo, exec_lo, s18
	s_add_i32 s16, s16, 32
	s_cmpk_gt_u32 s17, 0x1ef
	s_cbranch_scc1 .LBB0_26
.LBB0_31:                               ;   Parent Loop BB0_27 Depth=1
                                        ; =>  This Loop Header: Depth=2
                                        ;       Child Loop BB0_34 Depth 3
                                        ;       Child Loop BB0_39 Depth 3
	v_add_nc_u32_e32 v4, s16, v1
	v_add_nc_u32_e32 v3, s15, v4
	v_lshl_add_u32 v9, v4, 2, s12
	v_cmp_gt_i32_e32 vcc_lo, s0, v3
	s_and_b32 s18, vcc_lo, s14
	s_and_saveexec_b32 s17, s18
	s_cbranch_execz .LBB0_36
; %bb.32:                               ;   in Loop: Header=BB0_31 Depth=2
	ds_read_b32 v5, v9
	v_mad_i64_i32 v[3:4], null, v3, s2, 0
	s_mov_b32 s18, 0
	v_lshlrev_b64 v[10:11], 2, v[3:4]
	v_add_co_u32 v10, vcc_lo, s10, v10
	v_add_co_ci_u32_e64 v11, null, s11, v11, vcc_lo
	s_waitcnt lgkmcnt(0)
	v_mad_u64_u32 v[3:4], null, s13, v5, v[2:3]
	s_branch .LBB0_34
	.p2align	6
.LBB0_33:                               ;   in Loop: Header=BB0_34 Depth=3
	s_or_b32 exec_lo, exec_lo, s19
	v_add_nc_u32_e32 v3, 0x80, v3
	s_add_i32 s18, s18, 32
	s_cmp_lt_i32 s18, s2
	s_cbranch_scc0 .LBB0_36
.LBB0_34:                               ;   Parent Loop BB0_27 Depth=1
                                        ;     Parent Loop BB0_31 Depth=2
                                        ; =>    This Inner Loop Header: Depth=3
	v_add_nc_u32_e32 v4, s18, v0
	s_mov_b32 s19, exec_lo
	v_cmpx_gt_i32_e64 s2, v4
	s_cbranch_execz .LBB0_33
; %bb.35:                               ;   in Loop: Header=BB0_34 Depth=3
	v_ashrrev_i32_e32 v5, 31, v4
	v_lshlrev_b64 v[4:5], 2, v[4:5]
	v_add_co_u32 v4, vcc_lo, v10, v4
	v_add_co_ci_u32_e64 v5, null, v11, v5, vcc_lo
	global_load_dword v4, v[4:5], off
	s_waitcnt vmcnt(0)
	ds_add_f32 v3, v4
	s_branch .LBB0_33
.LBB0_36:                               ;   in Loop: Header=BB0_31 Depth=2
	s_or_b32 exec_lo, exec_lo, s17
	s_or_b32 s17, s16, 16
	v_add_nc_u32_e32 v3, s17, v8
	v_cmp_gt_i32_e32 vcc_lo, s0, v3
	s_and_b32 s19, vcc_lo, s14
	s_and_saveexec_b32 s18, s19
	s_cbranch_execz .LBB0_30
; %bb.37:                               ;   in Loop: Header=BB0_31 Depth=2
	ds_read_b32 v5, v9 offset:64
	v_mad_i64_i32 v[3:4], null, v3, s2, 0
	s_mov_b32 s19, 0
	v_lshlrev_b64 v[9:10], 2, v[3:4]
	v_add_co_u32 v9, vcc_lo, s10, v9
	v_add_co_ci_u32_e64 v10, null, s11, v10, vcc_lo
	s_waitcnt lgkmcnt(0)
	v_mad_u64_u32 v[3:4], null, s13, v5, v[2:3]
	s_branch .LBB0_39
	.p2align	6
.LBB0_38:                               ;   in Loop: Header=BB0_39 Depth=3
	s_or_b32 exec_lo, exec_lo, s20
	v_add_nc_u32_e32 v3, 0x80, v3
	s_add_i32 s19, s19, 32
	s_cmp_lt_i32 s19, s2
	s_cbranch_scc0 .LBB0_30
.LBB0_39:                               ;   Parent Loop BB0_27 Depth=1
                                        ;     Parent Loop BB0_31 Depth=2
                                        ; =>    This Inner Loop Header: Depth=3
	v_add_nc_u32_e32 v4, s19, v0
	s_mov_b32 s20, exec_lo
	v_cmpx_gt_i32_e64 s2, v4
	s_cbranch_execz .LBB0_38
; %bb.40:                               ;   in Loop: Header=BB0_39 Depth=3
	v_ashrrev_i32_e32 v5, 31, v4
	v_lshlrev_b64 v[4:5], 2, v[4:5]
	v_add_co_u32 v4, vcc_lo, v9, v4
	v_add_co_ci_u32_e64 v5, null, v10, v5, vcc_lo
	global_load_dword v4, v[4:5], off
	s_waitcnt vmcnt(0)
	ds_add_f32 v3, v4
	s_branch .LBB0_38
.LBB0_41:
	s_andn2_b32 vcc_lo, exec_lo, s3
	s_cbranch_vccnz .LBB0_75
; %bb.42:
	s_add_i32 s0, s1, -1
	s_lshr_b32 s2, s0, 9
	s_add_i32 s2, s2, 1
	s_cmpk_lt_u32 s0, 0xe00
	s_mov_b32 s0, 0
	s_cbranch_scc1 .LBB0_69
; %bb.43:
	v_mov_b32_e32 v1, 0
	s_and_b32 s3, s2, 0xfffff8
	s_mov_b32 s6, 0
	s_branch .LBB0_45
.LBB0_44:                               ;   in Loop: Header=BB0_45 Depth=1
	s_or_b32 exec_lo, exec_lo, s7
	s_add_i32 s6, s6, 8
	s_addk_i32 s0, 0x1000
	s_cmp_eq_u32 s6, s3
	s_cbranch_scc1 .LBB0_69
.LBB0_45:                               ; =>This Loop Header: Depth=1
                                        ;     Child Loop BB0_47 Depth 2
                                        ;     Child Loop BB0_50 Depth 2
	;; [unrolled: 1-line block ×8, first 2 shown]
	v_add_nc_u32_e32 v0, s0, v6
	s_mov_b32 s7, exec_lo
	v_lshl_add_u32 v7, v0, 2, 0
	v_cmpx_gt_i32_e64 s1, v0
	s_cbranch_execz .LBB0_48
; %bb.46:                               ;   in Loop: Header=BB0_45 Depth=1
	v_lshlrev_b64 v[2:3], 2, v[0:1]
	ds_read_b32 v0, v7
	s_mov_b32 s8, 0
	v_add_co_u32 v2, vcc_lo, s4, v2
	v_add_co_ci_u32_e64 v3, null, s5, v3, vcc_lo
	global_load_dword v5, v[2:3], off
.LBB0_47:                               ;   Parent Loop BB0_45 Depth=1
                                        ; =>  This Inner Loop Header: Depth=2
	s_waitcnt vmcnt(0) lgkmcnt(0)
	v_add_f32_e32 v4, v5, v0
	global_atomic_cmpswap v4, v[2:3], v[4:5], off glc
	s_waitcnt vmcnt(0)
	v_cmp_eq_u32_e32 vcc_lo, v4, v5
	v_mov_b32_e32 v5, v4
	s_or_b32 s8, vcc_lo, s8
	s_andn2_b32 exec_lo, exec_lo, s8
	s_cbranch_execnz .LBB0_47
.LBB0_48:                               ;   in Loop: Header=BB0_45 Depth=1
	s_or_b32 exec_lo, exec_lo, s7
	v_add3_u32 v0, v6, s0, 0x200
	s_mov_b32 s7, exec_lo
	v_cmpx_gt_i32_e64 s1, v0
	s_cbranch_execz .LBB0_51
; %bb.49:                               ;   in Loop: Header=BB0_45 Depth=1
	v_lshlrev_b64 v[2:3], 2, v[0:1]
	ds_read_b32 v0, v7 offset:2048
	s_mov_b32 s8, 0
	v_add_co_u32 v2, vcc_lo, s4, v2
	v_add_co_ci_u32_e64 v3, null, s5, v3, vcc_lo
	global_load_dword v5, v[2:3], off
.LBB0_50:                               ;   Parent Loop BB0_45 Depth=1
                                        ; =>  This Inner Loop Header: Depth=2
	s_waitcnt vmcnt(0) lgkmcnt(0)
	v_add_f32_e32 v4, v5, v0
	global_atomic_cmpswap v4, v[2:3], v[4:5], off glc
	s_waitcnt vmcnt(0)
	v_cmp_eq_u32_e32 vcc_lo, v4, v5
	v_mov_b32_e32 v5, v4
	s_or_b32 s8, vcc_lo, s8
	s_andn2_b32 exec_lo, exec_lo, s8
	s_cbranch_execnz .LBB0_50
.LBB0_51:                               ;   in Loop: Header=BB0_45 Depth=1
	s_or_b32 exec_lo, exec_lo, s7
	v_add3_u32 v0, v6, s0, 0x400
	s_mov_b32 s7, exec_lo
	v_cmpx_gt_i32_e64 s1, v0
	s_cbranch_execz .LBB0_54
; %bb.52:                               ;   in Loop: Header=BB0_45 Depth=1
	v_lshlrev_b64 v[2:3], 2, v[0:1]
	ds_read_b32 v0, v7 offset:4096
	s_mov_b32 s8, 0
	v_add_co_u32 v2, vcc_lo, s4, v2
	v_add_co_ci_u32_e64 v3, null, s5, v3, vcc_lo
	global_load_dword v5, v[2:3], off
.LBB0_53:                               ;   Parent Loop BB0_45 Depth=1
                                        ; =>  This Inner Loop Header: Depth=2
	s_waitcnt vmcnt(0) lgkmcnt(0)
	v_add_f32_e32 v4, v5, v0
	global_atomic_cmpswap v4, v[2:3], v[4:5], off glc
	s_waitcnt vmcnt(0)
	v_cmp_eq_u32_e32 vcc_lo, v4, v5
	v_mov_b32_e32 v5, v4
	s_or_b32 s8, vcc_lo, s8
	s_andn2_b32 exec_lo, exec_lo, s8
	s_cbranch_execnz .LBB0_53
.LBB0_54:                               ;   in Loop: Header=BB0_45 Depth=1
	;; [unrolled: 24-line block ×6, first 2 shown]
	s_or_b32 exec_lo, exec_lo, s7
	v_add3_u32 v0, v6, s0, 0xe00
	s_mov_b32 s7, exec_lo
	v_cmpx_gt_i32_e64 s1, v0
	s_cbranch_execz .LBB0_44
; %bb.67:                               ;   in Loop: Header=BB0_45 Depth=1
	v_lshlrev_b64 v[2:3], 2, v[0:1]
	ds_read_b32 v0, v7 offset:14336
	s_mov_b32 s8, 0
	v_add_co_u32 v2, vcc_lo, s4, v2
	v_add_co_ci_u32_e64 v3, null, s5, v3, vcc_lo
	global_load_dword v5, v[2:3], off
.LBB0_68:                               ;   Parent Loop BB0_45 Depth=1
                                        ; =>  This Inner Loop Header: Depth=2
	s_waitcnt vmcnt(0) lgkmcnt(0)
	v_add_f32_e32 v4, v5, v0
	global_atomic_cmpswap v4, v[2:3], v[4:5], off glc
	s_waitcnt vmcnt(0)
	v_cmp_eq_u32_e32 vcc_lo, v4, v5
	v_mov_b32_e32 v5, v4
	s_or_b32 s8, vcc_lo, s8
	s_andn2_b32 exec_lo, exec_lo, s8
	s_cbranch_execnz .LBB0_68
	s_branch .LBB0_44
.LBB0_69:
	s_and_b32 s2, s2, 7
	s_mov_b32 s3, 0
	s_cmp_eq_u32 s2, 0
	s_cbranch_scc1 .LBB0_75
; %bb.70:
	v_mov_b32_e32 v1, 0
	s_inst_prefetch 0x1
	s_branch .LBB0_72
	.p2align	6
.LBB0_71:                               ;   in Loop: Header=BB0_72 Depth=1
	s_or_b32 exec_lo, exec_lo, s6
	s_add_i32 s3, s3, 1
	s_addk_i32 s0, 0x200
	s_cmp_lg_u32 s3, s2
	s_cbranch_scc0 .LBB0_75
.LBB0_72:                               ; =>This Loop Header: Depth=1
                                        ;     Child Loop BB0_74 Depth 2
	v_add_nc_u32_e32 v0, s0, v6
	s_mov_b32 s6, exec_lo
	v_cmpx_gt_i32_e64 s1, v0
	s_cbranch_execz .LBB0_71
; %bb.73:                               ;   in Loop: Header=BB0_72 Depth=1
	v_lshlrev_b64 v[2:3], 2, v[0:1]
	v_lshl_add_u32 v0, v0, 2, 0
	s_mov_b32 s7, 0
	ds_read_b32 v0, v0
	v_add_co_u32 v2, vcc_lo, s4, v2
	v_add_co_ci_u32_e64 v3, null, s5, v3, vcc_lo
	global_load_dword v5, v[2:3], off
.LBB0_74:                               ;   Parent Loop BB0_72 Depth=1
                                        ; =>  This Inner Loop Header: Depth=2
	s_waitcnt vmcnt(0) lgkmcnt(0)
	v_add_f32_e32 v4, v5, v0
	global_atomic_cmpswap v4, v[2:3], v[4:5], off glc
	s_waitcnt vmcnt(0)
	v_cmp_eq_u32_e32 vcc_lo, v4, v5
	v_mov_b32_e32 v5, v4
	s_or_b32 s7, vcc_lo, s7
	s_andn2_b32 exec_lo, exec_lo, s7
	s_cbranch_execnz .LBB0_74
	s_branch .LBB0_71
.LBB0_75:
	s_inst_prefetch 0x2
	s_endpgm
	.section	.rodata,"a",@progbits
	.p2align	6, 0x0
	.amdhsa_kernel _Z17scatterAdd_kernelPKiPKfPfiii
		.amdhsa_group_segment_fixed_size 0
		.amdhsa_private_segment_fixed_size 0
		.amdhsa_kernarg_size 36
		.amdhsa_user_sgpr_count 6
		.amdhsa_user_sgpr_private_segment_buffer 1
		.amdhsa_user_sgpr_dispatch_ptr 0
		.amdhsa_user_sgpr_queue_ptr 0
		.amdhsa_user_sgpr_kernarg_segment_ptr 1
		.amdhsa_user_sgpr_dispatch_id 0
		.amdhsa_user_sgpr_flat_scratch_init 0
		.amdhsa_user_sgpr_private_segment_size 0
		.amdhsa_wavefront_size32 1
		.amdhsa_uses_dynamic_stack 0
		.amdhsa_system_sgpr_private_segment_wavefront_offset 0
		.amdhsa_system_sgpr_workgroup_id_x 1
		.amdhsa_system_sgpr_workgroup_id_y 0
		.amdhsa_system_sgpr_workgroup_id_z 0
		.amdhsa_system_sgpr_workgroup_info 0
		.amdhsa_system_vgpr_workitem_id 1
		.amdhsa_next_free_vgpr 12
		.amdhsa_next_free_sgpr 21
		.amdhsa_reserve_vcc 1
		.amdhsa_reserve_flat_scratch 0
		.amdhsa_float_round_mode_32 0
		.amdhsa_float_round_mode_16_64 0
		.amdhsa_float_denorm_mode_32 3
		.amdhsa_float_denorm_mode_16_64 3
		.amdhsa_dx10_clamp 1
		.amdhsa_ieee_mode 1
		.amdhsa_fp16_overflow 0
		.amdhsa_workgroup_processor_mode 1
		.amdhsa_memory_ordered 1
		.amdhsa_forward_progress 1
		.amdhsa_shared_vgpr_count 0
		.amdhsa_exception_fp_ieee_invalid_op 0
		.amdhsa_exception_fp_denorm_src 0
		.amdhsa_exception_fp_ieee_div_zero 0
		.amdhsa_exception_fp_ieee_overflow 0
		.amdhsa_exception_fp_ieee_underflow 0
		.amdhsa_exception_fp_ieee_inexact 0
		.amdhsa_exception_int_div_zero 0
	.end_amdhsa_kernel
	.text
.Lfunc_end0:
	.size	_Z17scatterAdd_kernelPKiPKfPfiii, .Lfunc_end0-_Z17scatterAdd_kernelPKiPKfPfiii
                                        ; -- End function
	.set _Z17scatterAdd_kernelPKiPKfPfiii.num_vgpr, 12
	.set _Z17scatterAdd_kernelPKiPKfPfiii.num_agpr, 0
	.set _Z17scatterAdd_kernelPKiPKfPfiii.numbered_sgpr, 21
	.set _Z17scatterAdd_kernelPKiPKfPfiii.num_named_barrier, 0
	.set _Z17scatterAdd_kernelPKiPKfPfiii.private_seg_size, 0
	.set _Z17scatterAdd_kernelPKiPKfPfiii.uses_vcc, 1
	.set _Z17scatterAdd_kernelPKiPKfPfiii.uses_flat_scratch, 0
	.set _Z17scatterAdd_kernelPKiPKfPfiii.has_dyn_sized_stack, 0
	.set _Z17scatterAdd_kernelPKiPKfPfiii.has_recursion, 0
	.set _Z17scatterAdd_kernelPKiPKfPfiii.has_indirect_call, 0
	.section	.AMDGPU.csdata,"",@progbits
; Kernel info:
; codeLenInByte = 2320
; TotalNumSgprs: 23
; NumVgprs: 12
; ScratchSize: 0
; MemoryBound: 0
; FloatMode: 240
; IeeeMode: 1
; LDSByteSize: 0 bytes/workgroup (compile time only)
; SGPRBlocks: 0
; VGPRBlocks: 1
; NumSGPRsForWavesPerEU: 23
; NumVGPRsForWavesPerEU: 12
; Occupancy: 16
; WaveLimiterHint : 0
; COMPUTE_PGM_RSRC2:SCRATCH_EN: 0
; COMPUTE_PGM_RSRC2:USER_SGPR: 6
; COMPUTE_PGM_RSRC2:TRAP_HANDLER: 0
; COMPUTE_PGM_RSRC2:TGID_X_EN: 1
; COMPUTE_PGM_RSRC2:TGID_Y_EN: 0
; COMPUTE_PGM_RSRC2:TGID_Z_EN: 0
; COMPUTE_PGM_RSRC2:TIDIG_COMP_CNT: 1
	.text
	.protected	_Z18scatterAdd2_kernelPKiPKfPfiii ; -- Begin function _Z18scatterAdd2_kernelPKiPKfPfiii
	.globl	_Z18scatterAdd2_kernelPKiPKfPfiii
	.p2align	8
	.type	_Z18scatterAdd2_kernelPKiPKfPfiii,@function
_Z18scatterAdd2_kernelPKiPKfPfiii:      ; @_Z18scatterAdd2_kernelPKiPKfPfiii
; %bb.0:
	s_load_dwordx4 s[8:11], s[4:5], 0x18
	v_lshl_add_u32 v2, v1, 5, v0
	v_lshlrev_b32_e32 v4, 2, v0
                                        ; implicit-def: $vgpr3
	s_waitcnt lgkmcnt(0)
	s_mul_i32 s7, s10, s9
	v_cmp_le_i32_e64 s0, s7, v2
	v_cmp_gt_i32_e32 vcc_lo, s7, v2
	s_and_saveexec_b32 s1, s0
	s_xor_b32 s0, exec_lo, s1
; %bb.1:
	v_lshlrev_b32_e32 v3, 2, v0
; %bb.2:
	s_andn2_saveexec_b32 s1, s0
	s_cbranch_execz .LBB1_6
; %bb.3:
	v_lshlrev_b32_e32 v5, 7, v1
	v_mov_b32_e32 v3, 0
	v_mov_b32_e32 v6, v2
	s_mov_b32 s2, 0
	v_add3_u32 v5, v5, v4, 0
.LBB1_4:                                ; =>This Inner Loop Header: Depth=1
	v_add_nc_u32_e32 v6, 0x200, v6
	ds_write_b32 v5, v3
	v_add_nc_u32_e32 v5, 0x800, v5
	v_cmp_le_i32_e64 s0, s7, v6
	s_or_b32 s2, s0, s2
	s_andn2_b32 exec_lo, exec_lo, s2
	s_cbranch_execnz .LBB1_4
; %bb.5:
	s_or_b32 exec_lo, exec_lo, s2
	v_mov_b32_e32 v3, v4
.LBB1_6:
	s_or_b32 exec_lo, exec_lo, s1
	s_clause 0x1
	s_load_dwordx4 s[12:15], s[4:5], 0x0
	s_load_dwordx2 s[2:3], s[4:5], 0x10
	s_lshl_b32 s6, s6, 13
	s_lshl_b32 s1, s7, 2
	v_or_b32_e32 v10, s6, v1
	v_cmp_le_i32_e64 s0, s10, v0
	s_add_i32 s16, s1, 0
	v_add_nc_u32_e32 v3, 0, v3
	v_lshl_add_u32 v11, v2, 2, s16
	v_add_nc_u32_e32 v12, 16, v10
	s_ashr_i32 s11, s10, 31
	s_mov_b32 s9, 0
	s_lshl_b64 s[4:5], s[10:11], 2
	s_lshl_b32 s11, s10, 2
	s_waitcnt lgkmcnt(0)
	v_add_co_u32 v4, s1, s14, v4
	v_add_co_ci_u32_e64 v5, null, s15, 0, s1
	s_xor_b32 s14, s0, -1
	s_branch .LBB1_8
.LBB1_7:                                ;   in Loop: Header=BB1_8 Depth=1
	v_add_nc_u32_e32 v10, 0x200, v10
	v_add_nc_u32_e32 v12, 0x200, v12
	s_add_i32 s0, s9, 0x200
	s_cmpk_gt_u32 s9, 0x1dff
	s_mov_b32 s9, s0
	s_waitcnt lgkmcnt(0)
	s_barrier
	buffer_gl0_inv
	s_cbranch_scc1 .LBB1_18
.LBB1_8:                                ; =>This Loop Header: Depth=1
                                        ;     Child Loop BB1_12 Depth 2
                                        ;       Child Loop BB1_14 Depth 3
                                        ;       Child Loop BB1_17 Depth 3
	s_add_i32 s15, s9, s6
	s_mov_b32 s1, exec_lo
	v_add_nc_u32_e32 v6, s15, v2
	v_cmpx_gt_i32_e64 s8, v6
	s_cbranch_execz .LBB1_10
; %bb.9:                                ;   in Loop: Header=BB1_8 Depth=1
	v_ashrrev_i32_e32 v7, 31, v6
	v_lshlrev_b64 v[6:7], 2, v[6:7]
	v_add_co_u32 v6, s0, s12, v6
	v_add_co_ci_u32_e64 v7, null, s13, v7, s0
	global_load_dword v6, v[6:7], off
	s_waitcnt vmcnt(0)
	ds_write_b32 v11, v6
.LBB1_10:                               ;   in Loop: Header=BB1_8 Depth=1
	s_or_b32 exec_lo, exec_lo, s1
	v_add_nc_u32_e32 v13, s15, v1
	v_mov_b32_e32 v14, v12
	v_mov_b32_e32 v15, v10
	s_mov_b32 s17, 0
	s_waitcnt lgkmcnt(0)
	s_barrier
	buffer_gl0_inv
	s_branch .LBB1_12
.LBB1_11:                               ;   in Loop: Header=BB1_12 Depth=2
	s_or_b32 exec_lo, exec_lo, s19
	v_add_nc_u32_e32 v15, 32, v15
	v_add_nc_u32_e32 v14, 32, v14
	s_add_i32 s17, s17, 32
	s_cmpk_gt_u32 s18, 0x1ef
	s_cbranch_scc1 .LBB1_7
.LBB1_12:                               ;   Parent Loop BB1_8 Depth=1
                                        ; =>  This Loop Header: Depth=2
                                        ;       Child Loop BB1_14 Depth 3
                                        ;       Child Loop BB1_17 Depth 3
	v_add_nc_u32_e32 v6, s17, v1
	v_add_nc_u32_e32 v7, s15, v6
	v_lshl_add_u32 v16, v6, 2, s16
	v_cmp_gt_i32_e64 s0, s8, v7
	s_and_b32 s0, s0, s14
	s_and_saveexec_b32 s18, s0
	s_cbranch_execz .LBB1_15
; %bb.13:                               ;   in Loop: Header=BB1_12 Depth=2
	ds_read_b32 v8, v16
	v_ashrrev_i32_e32 v9, 31, v15
	v_mad_u64_u32 v[6:7], null, s4, v15, v[4:5]
	v_mul_lo_u32 v17, s5, v15
	s_mov_b32 s19, 0
	v_mul_lo_u32 v18, s4, v9
	v_add3_u32 v7, v17, v7, v18
	s_waitcnt lgkmcnt(0)
	v_mad_u64_u32 v[8:9], null, s11, v8, v[3:4]
	v_mov_b32_e32 v9, v0
	.p2align	6
.LBB1_14:                               ;   Parent Loop BB1_8 Depth=1
                                        ;     Parent Loop BB1_12 Depth=2
                                        ; =>    This Inner Loop Header: Depth=3
	global_load_dword v17, v[6:7], off
	v_add_nc_u32_e32 v9, 32, v9
	v_add_co_u32 v6, s0, 0x80, v6
	v_add_co_ci_u32_e64 v7, null, 0, v7, s0
	v_cmp_le_i32_e64 s1, s10, v9
	s_or_b32 s19, s1, s19
	s_waitcnt vmcnt(0)
	ds_add_f32 v8, v17
	v_add_nc_u32_e32 v8, 0x80, v8
	s_andn2_b32 exec_lo, exec_lo, s19
	s_cbranch_execnz .LBB1_14
.LBB1_15:                               ;   in Loop: Header=BB1_12 Depth=2
	s_or_b32 exec_lo, exec_lo, s18
	s_or_b32 s18, s17, 16
	v_add_nc_u32_e32 v6, s18, v13
	v_cmp_gt_i32_e64 s0, s8, v6
	s_and_b32 s0, s0, s14
	s_and_saveexec_b32 s19, s0
	s_cbranch_execz .LBB1_11
; %bb.16:                               ;   in Loop: Header=BB1_12 Depth=2
	ds_read_b32 v8, v16 offset:64
	v_ashrrev_i32_e32 v9, 31, v14
	v_mad_u64_u32 v[6:7], null, s4, v14, v[4:5]
	v_mul_lo_u32 v16, s5, v14
	s_mov_b32 s20, 0
	v_mul_lo_u32 v17, s4, v9
	v_add3_u32 v7, v16, v7, v17
	s_waitcnt lgkmcnt(0)
	v_mad_u64_u32 v[8:9], null, s11, v8, v[3:4]
	v_mov_b32_e32 v9, v0
	.p2align	6
.LBB1_17:                               ;   Parent Loop BB1_8 Depth=1
                                        ;     Parent Loop BB1_12 Depth=2
                                        ; =>    This Inner Loop Header: Depth=3
	global_load_dword v16, v[6:7], off
	v_add_nc_u32_e32 v9, 32, v9
	v_add_co_u32 v6, s0, 0x80, v6
	v_add_co_ci_u32_e64 v7, null, 0, v7, s0
	v_cmp_le_i32_e64 s1, s10, v9
	s_or_b32 s20, s1, s20
	s_waitcnt vmcnt(0)
	ds_add_f32 v8, v16
	v_add_nc_u32_e32 v8, 0x80, v8
	s_andn2_b32 exec_lo, exec_lo, s20
	s_cbranch_execnz .LBB1_17
	s_branch .LBB1_11
.LBB1_18:
	s_and_saveexec_b32 s0, vcc_lo
	s_cbranch_execz .LBB1_23
; %bb.19:
	v_mov_b32_e32 v3, 0
	s_mov_b32 s0, 0
	.p2align	6
.LBB1_20:                               ; =>This Loop Header: Depth=1
                                        ;     Child Loop BB1_21 Depth 2
	v_lshlrev_b64 v[0:1], 2, v[2:3]
	v_lshl_add_u32 v4, v2, 2, 0
	s_mov_b32 s1, 0
	ds_read_b32 v6, v4
	v_add_co_u32 v0, vcc_lo, s2, v0
	v_add_co_ci_u32_e64 v1, null, s3, v1, vcc_lo
	global_load_dword v5, v[0:1], off
.LBB1_21:                               ;   Parent Loop BB1_20 Depth=1
                                        ; =>  This Inner Loop Header: Depth=2
	s_waitcnt vmcnt(0) lgkmcnt(0)
	v_add_f32_e32 v4, v5, v6
	global_atomic_cmpswap v4, v[0:1], v[4:5], off glc
	s_waitcnt vmcnt(0)
	v_cmp_eq_u32_e32 vcc_lo, v4, v5
	v_mov_b32_e32 v5, v4
	s_or_b32 s1, vcc_lo, s1
	s_andn2_b32 exec_lo, exec_lo, s1
	s_cbranch_execnz .LBB1_21
; %bb.22:                               ;   in Loop: Header=BB1_20 Depth=1
	s_or_b32 exec_lo, exec_lo, s1
	v_add_nc_u32_e32 v2, 0x200, v2
	v_cmp_le_i32_e32 vcc_lo, s7, v2
	s_or_b32 s0, vcc_lo, s0
	s_andn2_b32 exec_lo, exec_lo, s0
	s_cbranch_execnz .LBB1_20
.LBB1_23:
	s_endpgm
	.section	.rodata,"a",@progbits
	.p2align	6, 0x0
	.amdhsa_kernel _Z18scatterAdd2_kernelPKiPKfPfiii
		.amdhsa_group_segment_fixed_size 0
		.amdhsa_private_segment_fixed_size 0
		.amdhsa_kernarg_size 36
		.amdhsa_user_sgpr_count 6
		.amdhsa_user_sgpr_private_segment_buffer 1
		.amdhsa_user_sgpr_dispatch_ptr 0
		.amdhsa_user_sgpr_queue_ptr 0
		.amdhsa_user_sgpr_kernarg_segment_ptr 1
		.amdhsa_user_sgpr_dispatch_id 0
		.amdhsa_user_sgpr_flat_scratch_init 0
		.amdhsa_user_sgpr_private_segment_size 0
		.amdhsa_wavefront_size32 1
		.amdhsa_uses_dynamic_stack 0
		.amdhsa_system_sgpr_private_segment_wavefront_offset 0
		.amdhsa_system_sgpr_workgroup_id_x 1
		.amdhsa_system_sgpr_workgroup_id_y 0
		.amdhsa_system_sgpr_workgroup_id_z 0
		.amdhsa_system_sgpr_workgroup_info 0
		.amdhsa_system_vgpr_workitem_id 1
		.amdhsa_next_free_vgpr 19
		.amdhsa_next_free_sgpr 21
		.amdhsa_reserve_vcc 1
		.amdhsa_reserve_flat_scratch 0
		.amdhsa_float_round_mode_32 0
		.amdhsa_float_round_mode_16_64 0
		.amdhsa_float_denorm_mode_32 3
		.amdhsa_float_denorm_mode_16_64 3
		.amdhsa_dx10_clamp 1
		.amdhsa_ieee_mode 1
		.amdhsa_fp16_overflow 0
		.amdhsa_workgroup_processor_mode 1
		.amdhsa_memory_ordered 1
		.amdhsa_forward_progress 1
		.amdhsa_shared_vgpr_count 0
		.amdhsa_exception_fp_ieee_invalid_op 0
		.amdhsa_exception_fp_denorm_src 0
		.amdhsa_exception_fp_ieee_div_zero 0
		.amdhsa_exception_fp_ieee_overflow 0
		.amdhsa_exception_fp_ieee_underflow 0
		.amdhsa_exception_fp_ieee_inexact 0
		.amdhsa_exception_int_div_zero 0
	.end_amdhsa_kernel
	.text
.Lfunc_end1:
	.size	_Z18scatterAdd2_kernelPKiPKfPfiii, .Lfunc_end1-_Z18scatterAdd2_kernelPKiPKfPfiii
                                        ; -- End function
	.set _Z18scatterAdd2_kernelPKiPKfPfiii.num_vgpr, 19
	.set _Z18scatterAdd2_kernelPKiPKfPfiii.num_agpr, 0
	.set _Z18scatterAdd2_kernelPKiPKfPfiii.numbered_sgpr, 21
	.set _Z18scatterAdd2_kernelPKiPKfPfiii.num_named_barrier, 0
	.set _Z18scatterAdd2_kernelPKiPKfPfiii.private_seg_size, 0
	.set _Z18scatterAdd2_kernelPKiPKfPfiii.uses_vcc, 1
	.set _Z18scatterAdd2_kernelPKiPKfPfiii.uses_flat_scratch, 0
	.set _Z18scatterAdd2_kernelPKiPKfPfiii.has_dyn_sized_stack, 0
	.set _Z18scatterAdd2_kernelPKiPKfPfiii.has_recursion, 0
	.set _Z18scatterAdd2_kernelPKiPKfPfiii.has_indirect_call, 0
	.section	.AMDGPU.csdata,"",@progbits
; Kernel info:
; codeLenInByte = 1020
; TotalNumSgprs: 23
; NumVgprs: 19
; ScratchSize: 0
; MemoryBound: 0
; FloatMode: 240
; IeeeMode: 1
; LDSByteSize: 0 bytes/workgroup (compile time only)
; SGPRBlocks: 0
; VGPRBlocks: 2
; NumSGPRsForWavesPerEU: 23
; NumVGPRsForWavesPerEU: 19
; Occupancy: 16
; WaveLimiterHint : 0
; COMPUTE_PGM_RSRC2:SCRATCH_EN: 0
; COMPUTE_PGM_RSRC2:USER_SGPR: 6
; COMPUTE_PGM_RSRC2:TRAP_HANDLER: 0
; COMPUTE_PGM_RSRC2:TGID_X_EN: 1
; COMPUTE_PGM_RSRC2:TGID_Y_EN: 0
; COMPUTE_PGM_RSRC2:TGID_Z_EN: 0
; COMPUTE_PGM_RSRC2:TIDIG_COMP_CNT: 1
	.text
	.p2alignl 6, 3214868480
	.fill 48, 4, 3214868480
	.section	.AMDGPU.gpr_maximums,"",@progbits
	.set amdgpu.max_num_vgpr, 0
	.set amdgpu.max_num_agpr, 0
	.set amdgpu.max_num_sgpr, 0
	.text
	.type	__hip_cuid_c0747b78a9426d10,@object ; @__hip_cuid_c0747b78a9426d10
	.section	.bss,"aw",@nobits
	.globl	__hip_cuid_c0747b78a9426d10
__hip_cuid_c0747b78a9426d10:
	.byte	0                               ; 0x0
	.size	__hip_cuid_c0747b78a9426d10, 1

	.ident	"AMD clang version 22.0.0git (https://github.com/RadeonOpenCompute/llvm-project roc-7.2.4 26084 f58b06dce1f9c15707c5f808fd002e18c2accf7e)"
	.section	".note.GNU-stack","",@progbits
	.addrsig
	.addrsig_sym buffer
	.addrsig_sym __hip_cuid_c0747b78a9426d10
	.amdgpu_metadata
---
amdhsa.kernels:
  - .args:
      - .address_space:  global
        .offset:         0
        .size:           8
        .value_kind:     global_buffer
      - .address_space:  global
        .offset:         8
        .size:           8
        .value_kind:     global_buffer
      - .address_space:  global
        .offset:         16
        .size:           8
        .value_kind:     global_buffer
      - .offset:         24
        .size:           4
        .value_kind:     by_value
      - .offset:         28
        .size:           4
        .value_kind:     by_value
      - .offset:         32
        .size:           4
        .value_kind:     by_value
    .group_segment_fixed_size: 0
    .kernarg_segment_align: 8
    .kernarg_segment_size: 36
    .language:       OpenCL C
    .language_version:
      - 2
      - 0
    .max_flat_workgroup_size: 1024
    .name:           _Z17scatterAdd_kernelPKiPKfPfiii
    .private_segment_fixed_size: 0
    .sgpr_count:     23
    .sgpr_spill_count: 0
    .symbol:         _Z17scatterAdd_kernelPKiPKfPfiii.kd
    .uniform_work_group_size: 1
    .uses_dynamic_stack: false
    .vgpr_count:     12
    .vgpr_spill_count: 0
    .wavefront_size: 32
    .workgroup_processor_mode: 1
  - .args:
      - .address_space:  global
        .offset:         0
        .size:           8
        .value_kind:     global_buffer
      - .address_space:  global
        .offset:         8
        .size:           8
        .value_kind:     global_buffer
      - .address_space:  global
        .offset:         16
        .size:           8
        .value_kind:     global_buffer
      - .offset:         24
        .size:           4
        .value_kind:     by_value
      - .offset:         28
        .size:           4
        .value_kind:     by_value
      - .offset:         32
        .size:           4
        .value_kind:     by_value
    .group_segment_fixed_size: 0
    .kernarg_segment_align: 8
    .kernarg_segment_size: 36
    .language:       OpenCL C
    .language_version:
      - 2
      - 0
    .max_flat_workgroup_size: 1024
    .name:           _Z18scatterAdd2_kernelPKiPKfPfiii
    .private_segment_fixed_size: 0
    .sgpr_count:     23
    .sgpr_spill_count: 0
    .symbol:         _Z18scatterAdd2_kernelPKiPKfPfiii.kd
    .uniform_work_group_size: 1
    .uses_dynamic_stack: false
    .vgpr_count:     19
    .vgpr_spill_count: 0
    .wavefront_size: 32
    .workgroup_processor_mode: 1
amdhsa.target:   amdgcn-amd-amdhsa--gfx1030
amdhsa.version:
  - 1
  - 2
...

	.end_amdgpu_metadata
